;; amdgpu-corpus repo=ROCm/rocFFT kind=compiled arch=gfx906 opt=O3
	.text
	.amdgcn_target "amdgcn-amd-amdhsa--gfx906"
	.amdhsa_code_object_version 6
	.protected	fft_rtc_back_len490_factors_10_7_7_wgs_210_tpt_70_sp_op_CI_CI_unitstride_sbrr_dirReg ; -- Begin function fft_rtc_back_len490_factors_10_7_7_wgs_210_tpt_70_sp_op_CI_CI_unitstride_sbrr_dirReg
	.globl	fft_rtc_back_len490_factors_10_7_7_wgs_210_tpt_70_sp_op_CI_CI_unitstride_sbrr_dirReg
	.p2align	8
	.type	fft_rtc_back_len490_factors_10_7_7_wgs_210_tpt_70_sp_op_CI_CI_unitstride_sbrr_dirReg,@function
fft_rtc_back_len490_factors_10_7_7_wgs_210_tpt_70_sp_op_CI_CI_unitstride_sbrr_dirReg: ; @fft_rtc_back_len490_factors_10_7_7_wgs_210_tpt_70_sp_op_CI_CI_unitstride_sbrr_dirReg
; %bb.0:
	v_mul_u32_u24_e32 v1, 0x3a9, v0
	s_load_dwordx4 s[8:11], s[4:5], 0x58
	s_load_dwordx4 s[12:15], s[4:5], 0x0
	;; [unrolled: 1-line block ×3, first 2 shown]
	v_lshrrev_b32_e32 v1, 16, v1
	v_mad_u64_u32 v[8:9], s[0:1], s6, 3, v[1:2]
	v_mov_b32_e32 v5, 0
	s_waitcnt lgkmcnt(0)
	v_cmp_lt_u64_e64 s[0:1], s[14:15], 2
	v_mov_b32_e32 v13, 0
	v_mov_b32_e32 v9, v5
	;; [unrolled: 1-line block ×5, first 2 shown]
	s_and_b64 vcc, exec, s[0:1]
	v_mov_b32_e32 v2, v14
	v_mov_b32_e32 v4, v9
	s_cbranch_vccnz .LBB0_8
; %bb.1:
	s_load_dwordx2 s[0:1], s[4:5], 0x10
	s_add_u32 s2, s18, 8
	s_addc_u32 s3, s19, 0
	s_add_u32 s6, s16, 8
	s_addc_u32 s7, s17, 0
	v_mov_b32_e32 v13, 0
	s_waitcnt lgkmcnt(0)
	s_add_u32 s20, s0, 8
	v_mov_b32_e32 v14, 0
	v_mov_b32_e32 v1, v13
	;; [unrolled: 1-line block ×3, first 2 shown]
	s_addc_u32 s21, s1, 0
	s_mov_b64 s[22:23], 1
	v_mov_b32_e32 v2, v14
	v_mov_b32_e32 v9, v8
.LBB0_2:                                ; =>This Inner Loop Header: Depth=1
	s_load_dwordx2 s[24:25], s[20:21], 0x0
                                        ; implicit-def: $vgpr3_vgpr4
	s_waitcnt lgkmcnt(0)
	v_or_b32_e32 v6, s25, v10
	v_cmp_ne_u64_e32 vcc, 0, v[5:6]
	s_and_saveexec_b64 s[0:1], vcc
	s_xor_b64 s[26:27], exec, s[0:1]
	s_cbranch_execz .LBB0_4
; %bb.3:                                ;   in Loop: Header=BB0_2 Depth=1
	v_cvt_f32_u32_e32 v3, s24
	v_cvt_f32_u32_e32 v4, s25
	s_sub_u32 s0, 0, s24
	s_subb_u32 s1, 0, s25
	v_mac_f32_e32 v3, 0x4f800000, v4
	v_rcp_f32_e32 v3, v3
	v_mul_f32_e32 v3, 0x5f7ffffc, v3
	v_mul_f32_e32 v4, 0x2f800000, v3
	v_trunc_f32_e32 v4, v4
	v_mac_f32_e32 v3, 0xcf800000, v4
	v_cvt_u32_f32_e32 v4, v4
	v_cvt_u32_f32_e32 v3, v3
	v_mul_lo_u32 v6, s0, v4
	v_mul_hi_u32 v7, s0, v3
	v_mul_lo_u32 v12, s1, v3
	v_mul_lo_u32 v11, s0, v3
	v_add_u32_e32 v6, v7, v6
	v_add_u32_e32 v6, v6, v12
	v_mul_hi_u32 v7, v3, v11
	v_mul_lo_u32 v12, v3, v6
	v_mul_hi_u32 v16, v3, v6
	v_mul_hi_u32 v15, v4, v11
	v_mul_lo_u32 v11, v4, v11
	v_mul_hi_u32 v17, v4, v6
	v_add_co_u32_e32 v7, vcc, v7, v12
	v_addc_co_u32_e32 v12, vcc, 0, v16, vcc
	v_mul_lo_u32 v6, v4, v6
	v_add_co_u32_e32 v7, vcc, v7, v11
	v_addc_co_u32_e32 v7, vcc, v12, v15, vcc
	v_addc_co_u32_e32 v11, vcc, 0, v17, vcc
	v_add_co_u32_e32 v6, vcc, v7, v6
	v_addc_co_u32_e32 v7, vcc, 0, v11, vcc
	v_add_co_u32_e32 v3, vcc, v3, v6
	v_addc_co_u32_e32 v4, vcc, v4, v7, vcc
	v_mul_lo_u32 v6, s0, v4
	v_mul_hi_u32 v7, s0, v3
	v_mul_lo_u32 v11, s1, v3
	v_mul_lo_u32 v12, s0, v3
	v_add_u32_e32 v6, v7, v6
	v_add_u32_e32 v6, v6, v11
	v_mul_lo_u32 v15, v3, v6
	v_mul_hi_u32 v16, v3, v12
	v_mul_hi_u32 v17, v3, v6
	;; [unrolled: 1-line block ×3, first 2 shown]
	v_mul_lo_u32 v12, v4, v12
	v_mul_hi_u32 v7, v4, v6
	v_add_co_u32_e32 v15, vcc, v16, v15
	v_addc_co_u32_e32 v16, vcc, 0, v17, vcc
	v_mul_lo_u32 v6, v4, v6
	v_add_co_u32_e32 v12, vcc, v15, v12
	v_addc_co_u32_e32 v11, vcc, v16, v11, vcc
	v_addc_co_u32_e32 v7, vcc, 0, v7, vcc
	v_add_co_u32_e32 v6, vcc, v11, v6
	v_addc_co_u32_e32 v7, vcc, 0, v7, vcc
	v_add_co_u32_e32 v6, vcc, v3, v6
	v_addc_co_u32_e32 v7, vcc, v4, v7, vcc
	v_mad_u64_u32 v[3:4], s[0:1], v9, v7, 0
	v_mul_hi_u32 v11, v9, v6
	v_add_co_u32_e32 v11, vcc, v11, v3
	v_addc_co_u32_e32 v12, vcc, 0, v4, vcc
	v_mad_u64_u32 v[3:4], s[0:1], v10, v6, 0
	v_mad_u64_u32 v[6:7], s[0:1], v10, v7, 0
	v_add_co_u32_e32 v3, vcc, v11, v3
	v_addc_co_u32_e32 v3, vcc, v12, v4, vcc
	v_addc_co_u32_e32 v4, vcc, 0, v7, vcc
	v_add_co_u32_e32 v6, vcc, v3, v6
	v_addc_co_u32_e32 v7, vcc, 0, v4, vcc
	v_mul_lo_u32 v11, s25, v6
	v_mul_lo_u32 v12, s24, v7
	v_mad_u64_u32 v[3:4], s[0:1], s24, v6, 0
	v_add3_u32 v4, v4, v12, v11
	v_sub_u32_e32 v11, v10, v4
	v_mov_b32_e32 v12, s25
	v_sub_co_u32_e32 v3, vcc, v9, v3
	v_subb_co_u32_e64 v11, s[0:1], v11, v12, vcc
	v_subrev_co_u32_e64 v12, s[0:1], s24, v3
	v_subbrev_co_u32_e64 v11, s[0:1], 0, v11, s[0:1]
	v_cmp_le_u32_e64 s[0:1], s25, v11
	v_cndmask_b32_e64 v15, 0, -1, s[0:1]
	v_cmp_le_u32_e64 s[0:1], s24, v12
	v_cndmask_b32_e64 v12, 0, -1, s[0:1]
	v_cmp_eq_u32_e64 s[0:1], s25, v11
	v_cndmask_b32_e64 v11, v15, v12, s[0:1]
	v_add_co_u32_e64 v12, s[0:1], 2, v6
	v_addc_co_u32_e64 v15, s[0:1], 0, v7, s[0:1]
	v_add_co_u32_e64 v16, s[0:1], 1, v6
	v_addc_co_u32_e64 v17, s[0:1], 0, v7, s[0:1]
	v_subb_co_u32_e32 v4, vcc, v10, v4, vcc
	v_cmp_ne_u32_e64 s[0:1], 0, v11
	v_cmp_le_u32_e32 vcc, s25, v4
	v_cndmask_b32_e64 v11, v17, v15, s[0:1]
	v_cndmask_b32_e64 v15, 0, -1, vcc
	v_cmp_le_u32_e32 vcc, s24, v3
	v_cndmask_b32_e64 v3, 0, -1, vcc
	v_cmp_eq_u32_e32 vcc, s25, v4
	v_cndmask_b32_e32 v3, v15, v3, vcc
	v_cmp_ne_u32_e32 vcc, 0, v3
	v_cndmask_b32_e64 v3, v16, v12, s[0:1]
	v_cndmask_b32_e32 v4, v7, v11, vcc
	v_cndmask_b32_e32 v3, v6, v3, vcc
.LBB0_4:                                ;   in Loop: Header=BB0_2 Depth=1
	s_andn2_saveexec_b64 s[0:1], s[26:27]
	s_cbranch_execz .LBB0_6
; %bb.5:                                ;   in Loop: Header=BB0_2 Depth=1
	v_cvt_f32_u32_e32 v3, s24
	s_sub_i32 s26, 0, s24
	v_rcp_iflag_f32_e32 v3, v3
	v_mul_f32_e32 v3, 0x4f7ffffe, v3
	v_cvt_u32_f32_e32 v3, v3
	v_mul_lo_u32 v4, s26, v3
	v_mul_hi_u32 v4, v3, v4
	v_add_u32_e32 v3, v3, v4
	v_mul_hi_u32 v3, v9, v3
	v_mul_lo_u32 v4, v3, s24
	v_add_u32_e32 v6, 1, v3
	v_sub_u32_e32 v4, v9, v4
	v_subrev_u32_e32 v7, s24, v4
	v_cmp_le_u32_e32 vcc, s24, v4
	v_cndmask_b32_e32 v4, v4, v7, vcc
	v_cndmask_b32_e32 v3, v3, v6, vcc
	v_add_u32_e32 v6, 1, v3
	v_cmp_le_u32_e32 vcc, s24, v4
	v_cndmask_b32_e32 v3, v3, v6, vcc
	v_mov_b32_e32 v4, v5
.LBB0_6:                                ;   in Loop: Header=BB0_2 Depth=1
	s_or_b64 exec, exec, s[0:1]
	v_mul_lo_u32 v11, v4, s24
	v_mul_lo_u32 v12, v3, s25
	v_mad_u64_u32 v[6:7], s[0:1], v3, s24, 0
	s_load_dwordx2 s[0:1], s[6:7], 0x0
	s_load_dwordx2 s[24:25], s[2:3], 0x0
	v_add3_u32 v7, v7, v12, v11
	v_sub_co_u32_e32 v6, vcc, v9, v6
	v_subb_co_u32_e32 v7, vcc, v10, v7, vcc
	s_waitcnt lgkmcnt(0)
	v_mul_lo_u32 v9, s0, v7
	v_mul_lo_u32 v10, s1, v6
	v_mad_u64_u32 v[13:14], s[0:1], s0, v6, v[13:14]
	v_mul_lo_u32 v7, s24, v7
	v_mul_lo_u32 v11, s25, v6
	v_mad_u64_u32 v[1:2], s[0:1], s24, v6, v[1:2]
	s_add_u32 s22, s22, 1
	s_addc_u32 s23, s23, 0
	s_add_u32 s2, s2, 8
	v_add3_u32 v2, v11, v2, v7
	s_addc_u32 s3, s3, 0
	v_mov_b32_e32 v6, s14
	s_add_u32 s6, s6, 8
	v_mov_b32_e32 v7, s15
	s_addc_u32 s7, s7, 0
	v_cmp_ge_u64_e32 vcc, s[22:23], v[6:7]
	s_add_u32 s20, s20, 8
	v_add3_u32 v14, v10, v14, v9
	s_addc_u32 s21, s21, 0
	s_cbranch_vccnz .LBB0_8
; %bb.7:                                ;   in Loop: Header=BB0_2 Depth=1
	v_mov_b32_e32 v10, v4
	v_mov_b32_e32 v9, v3
	s_branch .LBB0_2
.LBB0_8:
	s_lshl_b64 s[14:15], s[14:15], 3
	s_load_dwordx2 s[0:1], s[4:5], 0x28
	s_add_u32 s2, s18, s14
	s_mov_b32 s3, 0x3a83a84
	v_mul_hi_u32 v5, v0, s3
	s_addc_u32 s3, s19, s15
	s_load_dwordx2 s[2:3], s[2:3], 0x0
	s_waitcnt lgkmcnt(0)
	v_cmp_gt_u64_e32 vcc, s[0:1], v[3:4]
	v_mul_u32_u24_e32 v5, 0x46, v5
	v_sub_u32_e32 v6, v0, v5
	v_mov_b32_e32 v5, 0
                                        ; implicit-def: $vgpr22
                                        ; implicit-def: $vgpr16
                                        ; implicit-def: $vgpr24
                                        ; implicit-def: $vgpr26
                                        ; implicit-def: $vgpr12
                                        ; implicit-def: $vgpr30
                                        ; implicit-def: $vgpr10
                                        ; implicit-def: $vgpr28
                                        ; implicit-def: $vgpr20
                                        ; implicit-def: $vgpr18
	s_and_saveexec_b64 s[4:5], vcc
	s_cbranch_execz .LBB0_12
; %bb.9:
	v_cmp_gt_u32_e64 s[0:1], 49, v6
                                        ; implicit-def: $vgpr17
                                        ; implicit-def: $vgpr19
                                        ; implicit-def: $vgpr27
                                        ; implicit-def: $vgpr9
                                        ; implicit-def: $vgpr29
                                        ; implicit-def: $vgpr11
                                        ; implicit-def: $vgpr25
                                        ; implicit-def: $vgpr23
                                        ; implicit-def: $vgpr15
                                        ; implicit-def: $vgpr21
	s_and_saveexec_b64 s[6:7], s[0:1]
	s_cbranch_execz .LBB0_11
; %bb.10:
	s_add_u32 s0, s16, s14
	s_addc_u32 s1, s17, s15
	s_load_dwordx2 s[0:1], s[0:1], 0x0
	v_mov_b32_e32 v11, s9
	v_mov_b32_e32 v7, 0
	s_waitcnt lgkmcnt(0)
	v_mul_lo_u32 v0, s1, v3
	v_mul_lo_u32 v5, s0, v4
	v_mad_u64_u32 v[9:10], s[0:1], s0, v3, 0
	v_add3_u32 v10, v10, v5, v0
	v_lshlrev_b64 v[9:10], 3, v[9:10]
	v_add_co_u32_e64 v0, s[0:1], s8, v9
	v_addc_co_u32_e64 v5, s[0:1], v11, v10, s[0:1]
	v_lshlrev_b64 v[9:10], 3, v[13:14]
	v_add_co_u32_e64 v0, s[0:1], v0, v9
	v_addc_co_u32_e64 v5, s[0:1], v5, v10, s[0:1]
	;; [unrolled: 3-line block ×3, first 2 shown]
	global_load_dwordx2 v[21:22], v[13:14], off
	global_load_dwordx2 v[15:16], v[13:14], off offset:392
	global_load_dwordx2 v[23:24], v[13:14], off offset:784
	;; [unrolled: 1-line block ×9, first 2 shown]
.LBB0_11:
	s_or_b64 exec, exec, s[6:7]
	v_mov_b32_e32 v5, v6
.LBB0_12:
	s_or_b64 exec, exec, s[4:5]
	s_mov_b32 s0, 0xaaaaaaab
	v_mul_hi_u32 v0, v8, s0
	v_cmp_gt_u32_e64 s[0:1], 49, v6
	v_lshrrev_b32_e32 v0, 1, v0
	v_lshl_add_u32 v0, v0, 1, v0
	v_sub_u32_e32 v0, v8, v0
	v_mul_u32_u24_e32 v0, 0x1ea, v0
	v_lshlrev_b32_e32 v0, 3, v0
	s_and_saveexec_b64 s[4:5], s[0:1]
	s_cbranch_execz .LBB0_14
; %bb.13:
	s_waitcnt vmcnt(3)
	v_add_f32_e32 v7, v26, v28
	v_add_f32_e32 v8, v25, v27
	v_fma_f32 v31, -0.5, v7, v22
	s_waitcnt vmcnt(1)
	v_add_f32_e32 v7, v24, v30
	v_fma_f32 v33, -0.5, v8, v21
	v_add_f32_e32 v8, v23, v29
	v_fma_f32 v32, -0.5, v7, v22
	;; [unrolled: 2-line block ×3, first 2 shown]
	v_add_f32_e32 v8, v21, v23
	v_add_f32_e32 v7, v7, v26
	;; [unrolled: 1-line block ×3, first 2 shown]
	v_sub_f32_e32 v13, v24, v26
	v_add_f32_e32 v7, v7, v28
	v_add_f32_e32 v8, v8, v27
	v_sub_f32_e32 v35, v30, v28
	v_sub_f32_e32 v14, v23, v29
	;; [unrolled: 1-line block ×11, first 2 shown]
	v_add_f32_e32 v30, v30, v7
	v_add_f32_e32 v29, v29, v8
	;; [unrolled: 1-line block ×3, first 2 shown]
	v_sub_f32_e32 v8, v17, v19
	s_waitcnt vmcnt(0)
	v_sub_f32_e32 v13, v11, v9
	v_add_f32_e32 v8, v13, v8
	v_sub_f32_e32 v13, v18, v20
	v_sub_f32_e32 v35, v12, v10
	v_add_f32_e32 v13, v35, v13
	v_add_f32_e32 v35, v9, v19
	;; [unrolled: 1-line block ×3, first 2 shown]
	v_fma_f32 v35, -0.5, v35, v15
	v_add_f32_e32 v37, v10, v20
	v_fma_f32 v38, -0.5, v38, v15
	v_add_f32_e32 v39, v12, v18
	v_add_f32_e32 v15, v15, v17
	v_sub_f32_e32 v41, v17, v11
	v_sub_f32_e32 v17, v19, v17
	v_add_f32_e32 v21, v21, v28
	v_sub_f32_e32 v28, v9, v11
	v_fma_f32 v37, -0.5, v37, v16
	v_fma_f32 v39, -0.5, v39, v16
	v_add_f32_e32 v16, v16, v18
	v_sub_f32_e32 v40, v18, v12
	v_sub_f32_e32 v18, v20, v18
	v_add_f32_e32 v17, v28, v17
	v_sub_f32_e32 v28, v10, v12
	v_add_f32_e32 v18, v28, v18
	v_mov_b32_e32 v28, v32
	v_fmac_f32_e32 v28, 0x3f737871, v25
	v_fmac_f32_e32 v32, 0xbf737871, v25
	;; [unrolled: 1-line block ×4, first 2 shown]
	v_add_f32_e32 v16, v20, v16
	v_sub_f32_e32 v20, v20, v10
	v_fmac_f32_e32 v28, 0x3e9e377a, v21
	v_fmac_f32_e32 v32, 0x3e9e377a, v21
	v_mov_b32_e32 v21, v38
	v_fmac_f32_e32 v21, 0xbf737871, v20
	v_fmac_f32_e32 v38, 0x3f737871, v20
	v_fmac_f32_e32 v21, 0x3f167918, v40
	v_fmac_f32_e32 v38, 0xbf167918, v40
	v_add_f32_e32 v15, v19, v15
	v_sub_f32_e32 v19, v19, v9
	v_fmac_f32_e32 v21, 0x3e9e377a, v17
	v_fmac_f32_e32 v38, 0x3e9e377a, v17
	v_mov_b32_e32 v17, v39
	v_fmac_f32_e32 v17, 0x3f737871, v19
	v_fmac_f32_e32 v39, 0xbf737871, v19
	v_fmac_f32_e32 v17, 0xbf167918, v41
	v_fmac_f32_e32 v39, 0x3f167918, v41
	v_fmac_f32_e32 v17, 0x3e9e377a, v18
	v_fmac_f32_e32 v39, 0x3e9e377a, v18
	v_mov_b32_e32 v18, v31
	v_fmac_f32_e32 v18, 0xbf737871, v14
	v_fmac_f32_e32 v31, 0x3f737871, v14
	v_fmac_f32_e32 v18, 0xbf167918, v25
	v_fmac_f32_e32 v31, 0x3f167918, v25
	;; [unrolled: 7-line block ×4, first 2 shown]
	v_fmac_f32_e32 v37, 0x3f167918, v19
	v_mul_f32_e32 v14, 0xbf4f1bbd, v8
	v_mul_f32_e32 v19, 0xbf167918, v8
	;; [unrolled: 1-line block ×4, first 2 shown]
	v_fmac_f32_e32 v14, 0x3f167918, v7
	v_fmac_f32_e32 v19, 0xbf4f1bbd, v7
	v_add_f32_e32 v7, v23, v27
	v_fmac_f32_e32 v20, 0x3f737871, v21
	v_fmac_f32_e32 v17, 0xbe9e377a, v21
	v_mov_b32_e32 v21, v22
	v_mov_b32_e32 v27, v33
	v_fmac_f32_e32 v21, 0xbf737871, v26
	v_fmac_f32_e32 v22, 0x3f737871, v26
	;; [unrolled: 1-line block ×4, first 2 shown]
	v_add_f32_e32 v13, v34, v36
	v_fmac_f32_e32 v21, 0x3f167918, v24
	v_fmac_f32_e32 v22, 0xbf167918, v24
	v_mul_f32_e32 v23, 0x3f737871, v38
	v_fmac_f32_e32 v27, 0x3f167918, v26
	v_fmac_f32_e32 v21, 0x3e9e377a, v7
	;; [unrolled: 1-line block ×5, first 2 shown]
	v_add_f32_e32 v7, v10, v16
	v_add_f32_e32 v9, v9, v15
	v_fmac_f32_e32 v27, 0x3e9e377a, v13
	v_mul_f32_e32 v25, 0xbf737871, v39
	v_fmac_f32_e32 v33, 0xbf167918, v26
	v_sub_f32_e32 v8, v18, v14
	v_add_f32_e32 v26, v12, v7
	v_add_f32_e32 v34, v11, v9
	v_sub_f32_e32 v10, v28, v20
	v_sub_f32_e32 v7, v27, v19
	v_add_f32_e32 v12, v18, v14
	v_add_f32_e32 v11, v27, v19
	v_sub_f32_e32 v14, v32, v23
	v_mul_f32_e32 v24, 0x3f4f1bbd, v37
	v_add_f32_e32 v16, v28, v20
	v_add_f32_e32 v20, v32, v23
	v_mul_f32_e32 v23, 0xbf167918, v37
	v_mul_u32_u24_e32 v27, 10, v6
	v_fmac_f32_e32 v25, 0x3e9e377a, v38
	v_fmac_f32_e32 v33, 0x3e9e377a, v13
	;; [unrolled: 1-line block ×4, first 2 shown]
	v_lshlrev_b32_e32 v27, 3, v27
	v_sub_f32_e32 v9, v21, v17
	v_add_f32_e32 v15, v21, v17
	v_sub_f32_e32 v18, v31, v24
	v_sub_f32_e32 v13, v22, v25
	v_add_f32_e32 v19, v22, v25
	v_sub_f32_e32 v22, v30, v26
	v_sub_f32_e32 v17, v33, v23
	v_add_f32_e32 v24, v31, v24
	v_add_f32_e32 v26, v30, v26
	;; [unrolled: 1-line block ×4, first 2 shown]
	v_add3_u32 v27, 0, v27, v0
	v_sub_f32_e32 v21, v29, v34
	ds_write2_b64 v27, v[25:26], v[23:24] offset1:1
	ds_write2_b64 v27, v[19:20], v[15:16] offset0:2 offset1:3
	ds_write2_b64 v27, v[11:12], v[21:22] offset0:4 offset1:5
	;; [unrolled: 1-line block ×4, first 2 shown]
.LBB0_14:
	s_or_b64 exec, exec, s[4:5]
	s_movk_i32 s0, 0xcd
	v_mul_lo_u16_sdwa v7, v6, s0 dst_sel:DWORD dst_unused:UNUSED_PAD src0_sel:BYTE_0 src1_sel:DWORD
	v_lshrrev_b16_e32 v37, 11, v7
	v_mul_lo_u16_e32 v7, 10, v37
	v_sub_u16_e32 v38, v6, v7
	v_mov_b32_e32 v7, 6
	v_mul_u32_u24_sdwa v7, v38, v7 dst_sel:DWORD dst_unused:UNUSED_PAD src0_sel:BYTE_0 src1_sel:DWORD
	v_lshlrev_b32_e32 v7, 3, v7
	s_waitcnt vmcnt(0) lgkmcnt(0)
	s_barrier
	global_load_dwordx4 v[11:14], v7, s[12:13]
	global_load_dwordx4 v[15:18], v7, s[12:13] offset:16
	global_load_dwordx4 v[19:22], v7, s[12:13] offset:32
	v_lshlrev_b32_e32 v8, 3, v6
	v_add3_u32 v7, 0, v0, v8
	v_add3_u32 v10, 0, v8, v0
	ds_read_b64 v[35:36], v7
	ds_read2_b64 v[23:26], v10 offset0:70 offset1:140
	v_add_u32_e32 v8, 0x400, v10
	v_add_u32_e32 v9, 0x800, v10
	ds_read2_b64 v[27:30], v8 offset0:82 offset1:152
	ds_read2_b64 v[31:34], v9 offset0:94 offset1:164
	s_mov_b32 s0, 0xbf5ff5aa
	s_mov_b32 s1, 0x3f3bfb3b
	;; [unrolled: 1-line block ×4, first 2 shown]
	s_movk_i32 s6, 0x230
	s_waitcnt vmcnt(0) lgkmcnt(0)
	s_barrier
	v_mul_f32_e32 v39, v12, v24
	v_mul_f32_e32 v12, v12, v23
	;; [unrolled: 1-line block ×9, first 2 shown]
	v_fmac_f32_e32 v39, v11, v23
	v_fma_f32 v11, v11, v24, -v12
	v_fmac_f32_e32 v40, v13, v25
	v_fma_f32 v12, v13, v26, -v14
	v_mul_f32_e32 v13, v20, v31
	v_mul_f32_e32 v14, v22, v34
	;; [unrolled: 1-line block ×3, first 2 shown]
	v_fmac_f32_e32 v41, v15, v27
	v_fma_f32 v15, v15, v28, -v16
	v_fmac_f32_e32 v42, v17, v29
	v_fma_f32 v16, v17, v30, -v18
	;; [unrolled: 2-line block ×4, first 2 shown]
	v_add_f32_e32 v18, v39, v14
	v_add_f32_e32 v19, v11, v17
	v_sub_f32_e32 v11, v11, v17
	v_add_f32_e32 v17, v40, v43
	v_add_f32_e32 v20, v12, v13
	v_sub_f32_e32 v12, v12, v13
	;; [unrolled: 3-line block ×4, first 2 shown]
	v_sub_f32_e32 v21, v40, v43
	v_sub_f32_e32 v23, v42, v41
	;; [unrolled: 1-line block ×5, first 2 shown]
	v_add_f32_e32 v28, v15, v12
	v_add_f32_e32 v13, v13, v16
	;; [unrolled: 1-line block ×3, first 2 shown]
	v_sub_f32_e32 v26, v20, v19
	v_sub_f32_e32 v19, v19, v22
	;; [unrolled: 1-line block ×3, first 2 shown]
	v_add_f32_e32 v27, v23, v21
	v_sub_f32_e32 v29, v23, v21
	v_sub_f32_e32 v30, v15, v12
	;; [unrolled: 1-line block ×5, first 2 shown]
	v_add_f32_e32 v22, v28, v11
	v_add_f32_e32 v11, v13, v35
	;; [unrolled: 1-line block ×3, first 2 shown]
	v_sub_f32_e32 v23, v14, v23
	v_mul_f32_e32 v18, 0x3f4a47b2, v18
	v_mul_f32_e32 v19, 0x3f4a47b2, v19
	;; [unrolled: 1-line block ×6, first 2 shown]
	v_mov_b32_e32 v33, v11
	v_mov_b32_e32 v34, v12
	v_add_f32_e32 v14, v27, v14
	v_mul_f32_e32 v27, 0x3d64c772, v20
	v_mul_f32_e32 v32, 0xbf5ff5aa, v31
	v_fmac_f32_e32 v33, 0xbf955555, v13
	v_fmac_f32_e32 v34, 0xbf955555, v16
	v_fma_f32 v13, v25, s1, -v24
	v_fma_f32 v24, v25, s4, -v18
	v_fmac_f32_e32 v18, 0x3d64c772, v17
	v_fma_f32 v17, v26, s4, -v19
	v_fmac_f32_e32 v19, 0x3d64c772, v20
	;; [unrolled: 2-line block ×4, first 2 shown]
	v_fma_f32 v23, v23, s5, -v30
	v_fma_f32 v16, v26, s1, -v27
	;; [unrolled: 1-line block ×3, first 2 shown]
	v_add_f32_e32 v26, v18, v33
	v_add_f32_e32 v31, v17, v34
	v_fmac_f32_e32 v29, 0xbee1c552, v22
	v_fmac_f32_e32 v23, 0xbee1c552, v14
	v_add_f32_e32 v27, v19, v34
	v_add_f32_e32 v19, v13, v33
	;; [unrolled: 1-line block ×4, first 2 shown]
	v_fmac_f32_e32 v21, 0xbee1c552, v22
	v_fmac_f32_e32 v25, 0xbee1c552, v22
	v_add_f32_e32 v13, v29, v26
	v_sub_f32_e32 v16, v31, v23
	v_add_f32_e32 v22, v23, v31
	v_sub_f32_e32 v23, v26, v29
	v_mov_b32_e32 v26, 3
	v_fmac_f32_e32 v28, 0xbee1c552, v14
	v_add_f32_e32 v15, v25, v24
	v_sub_f32_e32 v17, v19, v21
	v_add_f32_e32 v19, v21, v19
	v_sub_f32_e32 v21, v24, v25
	v_mad_u32_u24 v25, v37, s6, 0
	v_lshlrev_b32_sdwa v26, v26, v38 dst_sel:DWORD dst_unused:UNUSED_PAD src0_sel:DWORD src1_sel:BYTE_0
	v_fmac_f32_e32 v20, 0xbee1c552, v14
	v_sub_f32_e32 v14, v27, v28
	v_add3_u32 v0, v25, v26, v0
	v_add_f32_e32 v18, v20, v30
	v_sub_f32_e32 v20, v30, v20
	v_add_f32_e32 v24, v28, v27
	ds_write2_b64 v0, v[11:12], v[13:14] offset1:10
	ds_write2_b64 v0, v[15:16], v[17:18] offset0:20 offset1:30
	ds_write2_b64 v0, v[19:20], v[21:22] offset0:40 offset1:50
	ds_write_b64 v0, v[23:24] offset:480
	s_waitcnt lgkmcnt(0)
	s_barrier
	s_and_saveexec_b64 s[6:7], vcc
	s_cbranch_execz .LBB0_16
; %bb.15:
	v_mul_u32_u24_e32 v0, 6, v6
	v_lshlrev_b32_e32 v0, 3, v0
	global_load_dwordx4 v[11:14], v0, s[12:13] offset:480
	global_load_dwordx4 v[15:18], v0, s[12:13] offset:512
	global_load_dwordx4 v[19:22], v0, s[12:13] offset:496
	v_mul_lo_u32 v0, s3, v3
	v_mul_lo_u32 v35, s2, v4
	v_mad_u64_u32 v[3:4], s[2:3], s2, v3, 0
	ds_read2_b64 v[23:26], v10 offset0:70 offset1:140
	ds_read2_b64 v[27:30], v9 offset0:94 offset1:164
	ds_read2_b64 v[31:34], v8 offset0:82 offset1:152
	ds_read_b64 v[6:7], v7
	v_add3_u32 v4, v4, v35, v0
	v_lshlrev_b64 v[3:4], 3, v[3:4]
	v_add_co_u32_e32 v3, vcc, s10, v3
	s_waitcnt vmcnt(2) lgkmcnt(3)
	v_mul_f32_e32 v0, v12, v24
	s_waitcnt vmcnt(1) lgkmcnt(2)
	v_mul_f32_e32 v8, v18, v30
	;; [unrolled: 2-line block ×3, first 2 shown]
	v_mul_f32_e32 v10, v20, v32
	v_mul_f32_e32 v35, v14, v26
	;; [unrolled: 1-line block ×9, first 2 shown]
	v_fmac_f32_e32 v0, v11, v23
	v_fmac_f32_e32 v8, v17, v29
	;; [unrolled: 1-line block ×6, first 2 shown]
	v_fma_f32 v17, v17, v30, -v18
	v_fma_f32 v11, v11, v24, -v12
	;; [unrolled: 1-line block ×6, first 2 shown]
	v_sub_f32_e32 v16, v9, v10
	v_sub_f32_e32 v19, v35, v36
	v_add_f32_e32 v20, v11, v17
	v_add_f32_e32 v21, v18, v12
	;; [unrolled: 1-line block ×3, first 2 shown]
	v_sub_f32_e32 v14, v0, v8
	v_add_f32_e32 v0, v0, v8
	v_add_f32_e32 v8, v9, v10
	;; [unrolled: 1-line block ×3, first 2 shown]
	v_sub_f32_e32 v11, v11, v17
	v_sub_f32_e32 v9, v18, v12
	;; [unrolled: 1-line block ×5, first 2 shown]
	v_add_f32_e32 v18, v20, v22
	v_add_f32_e32 v15, v16, v19
	v_sub_f32_e32 v25, v8, v23
	v_add_f32_e32 v26, v0, v23
	v_sub_f32_e32 v27, v11, v9
	v_sub_f32_e32 v28, v9, v13
	v_add_f32_e32 v9, v9, v13
	v_mul_f32_e32 v29, 0x3f08b237, v10
	v_mul_f32_e32 v17, 0x3d64c772, v17
	v_add_f32_e32 v10, v21, v18
	v_sub_f32_e32 v12, v14, v16
	v_sub_f32_e32 v16, v20, v21
	;; [unrolled: 1-line block ×3, first 2 shown]
	v_add_f32_e32 v15, v14, v15
	v_mul_f32_e32 v21, 0x3d64c772, v25
	v_add_f32_e32 v25, v8, v26
	v_mul_f32_e32 v26, 0x3f08b237, v28
	v_add_f32_e32 v28, v11, v9
	v_mov_b32_e32 v9, v17
	s_waitcnt lgkmcnt(0)
	v_add_f32_e32 v8, v10, v7
	v_sub_f32_e32 v14, v19, v14
	v_mul_f32_e32 v30, 0x3f4a47b2, v16
	v_mov_b32_e32 v31, v29
	v_mov_b32_e32 v32, v21
	v_add_f32_e32 v7, v25, v6
	v_fmac_f32_e32 v9, 0x3f4a47b2, v16
	v_mov_b32_e32 v16, v8
	v_mul_f32_e32 v19, 0xbf5ff5aa, v14
	v_sub_f32_e32 v20, v22, v20
	v_mul_f32_e32 v18, 0x3f4a47b2, v24
	v_fmac_f32_e32 v31, 0xbeae86e6, v12
	v_fmac_f32_e32 v32, 0x3f4a47b2, v24
	v_mov_b32_e32 v24, v7
	v_fmac_f32_e32 v16, 0xbf955555, v10
	v_fma_f32 v19, v12, s5, -v19
	v_fma_f32 v12, v20, s4, -v30
	;; [unrolled: 1-line block ×3, first 2 shown]
	v_fmac_f32_e32 v24, 0xbf955555, v25
	v_add_f32_e32 v25, v9, v16
	v_add_f32_e32 v22, v12, v16
	v_sub_f32_e32 v0, v23, v0
	v_sub_f32_e32 v13, v13, v11
	v_add_f32_e32 v16, v17, v16
	v_fma_f32 v17, v14, s0, -v29
	v_fmac_f32_e32 v31, 0xbee1c552, v15
	v_fmac_f32_e32 v19, 0xbee1c552, v15
	v_fma_f32 v18, v0, s4, -v18
	v_fmac_f32_e32 v17, 0xbee1c552, v15
	v_fma_f32 v0, v0, s1, -v21
	v_fma_f32 v15, v13, s0, -v26
	v_add_f32_e32 v0, v0, v24
	v_fmac_f32_e32 v15, 0xbee1c552, v28
	v_mov_b32_e32 v6, v26
	v_mul_f32_e32 v11, 0xbf5ff5aa, v13
	v_add_f32_e32 v13, v15, v0
	v_sub_f32_e32 v15, v0, v15
	v_mov_b32_e32 v0, s11
	v_fmac_f32_e32 v6, 0xbeae86e6, v27
	v_addc_co_u32_e32 v4, vcc, v0, v4, vcc
	v_lshlrev_b64 v[0:1], 3, v[1:2]
	v_fmac_f32_e32 v6, 0xbee1c552, v28
	v_add_f32_e32 v32, v32, v24
	v_sub_f32_e32 v9, v32, v6
	v_add_f32_e32 v12, v19, v22
	v_add_f32_e32 v23, v18, v24
	v_sub_f32_e32 v18, v22, v19
	v_add_f32_e32 v19, v6, v32
	v_mov_b32_e32 v6, 0
	v_add_co_u32_e32 v2, vcc, v3, v0
	v_addc_co_u32_e32 v3, vcc, v4, v1, vcc
	v_lshlrev_b64 v[0:1], 3, v[5:6]
	v_fma_f32 v27, v27, s5, -v11
	v_add_co_u32_e32 v0, vcc, v2, v0
	v_fmac_f32_e32 v27, 0xbee1c552, v28
	v_addc_co_u32_e32 v1, vcc, v3, v1, vcc
	v_add_f32_e32 v10, v31, v25
	v_sub_f32_e32 v11, v23, v27
	v_sub_f32_e32 v14, v16, v17
	v_add_f32_e32 v16, v17, v16
	v_add_f32_e32 v17, v27, v23
	v_sub_f32_e32 v20, v25, v31
	global_store_dwordx2 v[0:1], v[7:8], off
	global_store_dwordx2 v[0:1], v[19:20], off offset:560
	global_store_dwordx2 v[0:1], v[17:18], off offset:1120
	;; [unrolled: 1-line block ×6, first 2 shown]
.LBB0_16:
	s_endpgm
	.section	.rodata,"a",@progbits
	.p2align	6, 0x0
	.amdhsa_kernel fft_rtc_back_len490_factors_10_7_7_wgs_210_tpt_70_sp_op_CI_CI_unitstride_sbrr_dirReg
		.amdhsa_group_segment_fixed_size 0
		.amdhsa_private_segment_fixed_size 0
		.amdhsa_kernarg_size 104
		.amdhsa_user_sgpr_count 6
		.amdhsa_user_sgpr_private_segment_buffer 1
		.amdhsa_user_sgpr_dispatch_ptr 0
		.amdhsa_user_sgpr_queue_ptr 0
		.amdhsa_user_sgpr_kernarg_segment_ptr 1
		.amdhsa_user_sgpr_dispatch_id 0
		.amdhsa_user_sgpr_flat_scratch_init 0
		.amdhsa_user_sgpr_private_segment_size 0
		.amdhsa_uses_dynamic_stack 0
		.amdhsa_system_sgpr_private_segment_wavefront_offset 0
		.amdhsa_system_sgpr_workgroup_id_x 1
		.amdhsa_system_sgpr_workgroup_id_y 0
		.amdhsa_system_sgpr_workgroup_id_z 0
		.amdhsa_system_sgpr_workgroup_info 0
		.amdhsa_system_vgpr_workitem_id 0
		.amdhsa_next_free_vgpr 44
		.amdhsa_next_free_sgpr 28
		.amdhsa_reserve_vcc 1
		.amdhsa_reserve_flat_scratch 0
		.amdhsa_float_round_mode_32 0
		.amdhsa_float_round_mode_16_64 0
		.amdhsa_float_denorm_mode_32 3
		.amdhsa_float_denorm_mode_16_64 3
		.amdhsa_dx10_clamp 1
		.amdhsa_ieee_mode 1
		.amdhsa_fp16_overflow 0
		.amdhsa_exception_fp_ieee_invalid_op 0
		.amdhsa_exception_fp_denorm_src 0
		.amdhsa_exception_fp_ieee_div_zero 0
		.amdhsa_exception_fp_ieee_overflow 0
		.amdhsa_exception_fp_ieee_underflow 0
		.amdhsa_exception_fp_ieee_inexact 0
		.amdhsa_exception_int_div_zero 0
	.end_amdhsa_kernel
	.text
.Lfunc_end0:
	.size	fft_rtc_back_len490_factors_10_7_7_wgs_210_tpt_70_sp_op_CI_CI_unitstride_sbrr_dirReg, .Lfunc_end0-fft_rtc_back_len490_factors_10_7_7_wgs_210_tpt_70_sp_op_CI_CI_unitstride_sbrr_dirReg
                                        ; -- End function
	.section	.AMDGPU.csdata,"",@progbits
; Kernel info:
; codeLenInByte = 4080
; NumSgprs: 32
; NumVgprs: 44
; ScratchSize: 0
; MemoryBound: 0
; FloatMode: 240
; IeeeMode: 1
; LDSByteSize: 0 bytes/workgroup (compile time only)
; SGPRBlocks: 3
; VGPRBlocks: 10
; NumSGPRsForWavesPerEU: 32
; NumVGPRsForWavesPerEU: 44
; Occupancy: 5
; WaveLimiterHint : 1
; COMPUTE_PGM_RSRC2:SCRATCH_EN: 0
; COMPUTE_PGM_RSRC2:USER_SGPR: 6
; COMPUTE_PGM_RSRC2:TRAP_HANDLER: 0
; COMPUTE_PGM_RSRC2:TGID_X_EN: 1
; COMPUTE_PGM_RSRC2:TGID_Y_EN: 0
; COMPUTE_PGM_RSRC2:TGID_Z_EN: 0
; COMPUTE_PGM_RSRC2:TIDIG_COMP_CNT: 0
	.type	__hip_cuid_dd9402c4e7236149,@object ; @__hip_cuid_dd9402c4e7236149
	.section	.bss,"aw",@nobits
	.globl	__hip_cuid_dd9402c4e7236149
__hip_cuid_dd9402c4e7236149:
	.byte	0                               ; 0x0
	.size	__hip_cuid_dd9402c4e7236149, 1

	.ident	"AMD clang version 19.0.0git (https://github.com/RadeonOpenCompute/llvm-project roc-6.4.0 25133 c7fe45cf4b819c5991fe208aaa96edf142730f1d)"
	.section	".note.GNU-stack","",@progbits
	.addrsig
	.addrsig_sym __hip_cuid_dd9402c4e7236149
	.amdgpu_metadata
---
amdhsa.kernels:
  - .args:
      - .actual_access:  read_only
        .address_space:  global
        .offset:         0
        .size:           8
        .value_kind:     global_buffer
      - .offset:         8
        .size:           8
        .value_kind:     by_value
      - .actual_access:  read_only
        .address_space:  global
        .offset:         16
        .size:           8
        .value_kind:     global_buffer
      - .actual_access:  read_only
        .address_space:  global
        .offset:         24
        .size:           8
        .value_kind:     global_buffer
      - .actual_access:  read_only
        .address_space:  global
        .offset:         32
        .size:           8
        .value_kind:     global_buffer
      - .offset:         40
        .size:           8
        .value_kind:     by_value
      - .actual_access:  read_only
        .address_space:  global
        .offset:         48
        .size:           8
        .value_kind:     global_buffer
      - .actual_access:  read_only
        .address_space:  global
        .offset:         56
        .size:           8
        .value_kind:     global_buffer
      - .offset:         64
        .size:           4
        .value_kind:     by_value
      - .actual_access:  read_only
        .address_space:  global
        .offset:         72
        .size:           8
        .value_kind:     global_buffer
      - .actual_access:  read_only
        .address_space:  global
        .offset:         80
        .size:           8
        .value_kind:     global_buffer
      - .actual_access:  read_only
        .address_space:  global
        .offset:         88
        .size:           8
        .value_kind:     global_buffer
      - .actual_access:  write_only
        .address_space:  global
        .offset:         96
        .size:           8
        .value_kind:     global_buffer
    .group_segment_fixed_size: 0
    .kernarg_segment_align: 8
    .kernarg_segment_size: 104
    .language:       OpenCL C
    .language_version:
      - 2
      - 0
    .max_flat_workgroup_size: 210
    .name:           fft_rtc_back_len490_factors_10_7_7_wgs_210_tpt_70_sp_op_CI_CI_unitstride_sbrr_dirReg
    .private_segment_fixed_size: 0
    .sgpr_count:     32
    .sgpr_spill_count: 0
    .symbol:         fft_rtc_back_len490_factors_10_7_7_wgs_210_tpt_70_sp_op_CI_CI_unitstride_sbrr_dirReg.kd
    .uniform_work_group_size: 1
    .uses_dynamic_stack: false
    .vgpr_count:     44
    .vgpr_spill_count: 0
    .wavefront_size: 64
amdhsa.target:   amdgcn-amd-amdhsa--gfx906
amdhsa.version:
  - 1
  - 2
...

	.end_amdgpu_metadata
